;; amdgpu-corpus repo=ROCm/rocFFT kind=compiled arch=gfx950 opt=O3
	.text
	.amdgcn_target "amdgcn-amd-amdhsa--gfx950"
	.amdhsa_code_object_version 6
	.protected	fft_rtc_fwd_len900_factors_10_10_3_3_wgs_180_tpt_90_halfLds_sp_op_CI_CI_unitstride_sbrr_C2R_dirReg ; -- Begin function fft_rtc_fwd_len900_factors_10_10_3_3_wgs_180_tpt_90_halfLds_sp_op_CI_CI_unitstride_sbrr_C2R_dirReg
	.globl	fft_rtc_fwd_len900_factors_10_10_3_3_wgs_180_tpt_90_halfLds_sp_op_CI_CI_unitstride_sbrr_C2R_dirReg
	.p2align	8
	.type	fft_rtc_fwd_len900_factors_10_10_3_3_wgs_180_tpt_90_halfLds_sp_op_CI_CI_unitstride_sbrr_C2R_dirReg,@function
fft_rtc_fwd_len900_factors_10_10_3_3_wgs_180_tpt_90_halfLds_sp_op_CI_CI_unitstride_sbrr_C2R_dirReg: ; @fft_rtc_fwd_len900_factors_10_10_3_3_wgs_180_tpt_90_halfLds_sp_op_CI_CI_unitstride_sbrr_C2R_dirReg
; %bb.0:
	s_load_dwordx4 s[4:7], s[0:1], 0x58
	s_load_dwordx4 s[8:11], s[0:1], 0x0
	;; [unrolled: 1-line block ×3, first 2 shown]
	v_mul_u32_u24_e32 v1, 0x2d9, v0
	v_lshrrev_b32_e32 v1, 16, v1
	v_lshl_add_u32 v6, s2, 1, v1
	v_mov_b32_e32 v4, 0
	s_waitcnt lgkmcnt(0)
	v_cmp_lt_u64_e64 s[2:3], s[10:11], 2
	v_mov_b32_e32 v7, v4
	s_and_b64 vcc, exec, s[2:3]
	v_mov_b64_e32 v[2:3], 0
	s_cbranch_vccnz .LBB0_8
; %bb.1:
	s_load_dwordx2 s[2:3], s[0:1], 0x10
	s_add_u32 s16, s14, 8
	s_addc_u32 s17, s15, 0
	s_add_u32 s18, s12, 8
	s_addc_u32 s19, s13, 0
	s_waitcnt lgkmcnt(0)
	s_add_u32 s20, s2, 8
	v_mov_b64_e32 v[2:3], 0
	s_addc_u32 s21, s3, 0
	s_mov_b64 s[22:23], 1
	v_mov_b64_e32 v[16:17], v[2:3]
.LBB0_2:                                ; =>This Inner Loop Header: Depth=1
	s_load_dwordx2 s[24:25], s[20:21], 0x0
                                        ; implicit-def: $vgpr18_vgpr19
	s_waitcnt lgkmcnt(0)
	v_or_b32_e32 v5, s25, v7
	v_cmp_ne_u64_e32 vcc, 0, v[4:5]
	s_and_saveexec_b64 s[2:3], vcc
	s_xor_b64 s[26:27], exec, s[2:3]
	s_cbranch_execz .LBB0_4
; %bb.3:                                ;   in Loop: Header=BB0_2 Depth=1
	v_cvt_f32_u32_e32 v5, s24
	v_cvt_f32_u32_e32 v8, s25
	s_sub_u32 s2, 0, s24
	s_subb_u32 s3, 0, s25
	v_fmac_f32_e32 v5, 0x4f800000, v8
	v_rcp_f32_e32 v5, v5
	s_nop 0
	v_mul_f32_e32 v5, 0x5f7ffffc, v5
	v_mul_f32_e32 v8, 0x2f800000, v5
	v_trunc_f32_e32 v8, v8
	v_fmac_f32_e32 v5, 0xcf800000, v8
	v_cvt_u32_f32_e32 v12, v8
	v_cvt_u32_f32_e32 v5, v5
	v_mul_lo_u32 v8, s2, v12
	v_mul_hi_u32 v10, s2, v5
	v_mul_lo_u32 v9, s3, v5
	v_add_u32_e32 v10, v10, v8
	v_mul_lo_u32 v13, s2, v5
	v_add_u32_e32 v14, v10, v9
	v_mul_hi_u32 v8, v5, v13
	v_mul_hi_u32 v11, v5, v14
	v_mul_lo_u32 v10, v5, v14
	v_mov_b32_e32 v9, v4
	v_lshl_add_u64 v[8:9], v[8:9], 0, v[10:11]
	v_mul_hi_u32 v11, v12, v13
	v_mul_lo_u32 v13, v12, v13
	v_add_co_u32_e32 v8, vcc, v8, v13
	v_mul_hi_u32 v10, v12, v14
	s_nop 0
	v_addc_co_u32_e32 v8, vcc, v9, v11, vcc
	v_mov_b32_e32 v9, v4
	s_nop 0
	v_addc_co_u32_e32 v11, vcc, 0, v10, vcc
	v_mul_lo_u32 v10, v12, v14
	v_lshl_add_u64 v[8:9], v[8:9], 0, v[10:11]
	v_add_co_u32_e32 v5, vcc, v5, v8
	v_mul_lo_u32 v10, s2, v5
	s_nop 0
	v_addc_co_u32_e32 v12, vcc, v12, v9, vcc
	v_mul_lo_u32 v8, s2, v12
	v_mul_hi_u32 v9, s2, v5
	v_add_u32_e32 v8, v9, v8
	v_mul_lo_u32 v9, s3, v5
	v_add_u32_e32 v13, v8, v9
	v_mul_hi_u32 v15, v12, v10
	v_mul_lo_u32 v18, v12, v10
	v_mul_hi_u32 v9, v5, v13
	v_mul_lo_u32 v8, v5, v13
	v_mul_hi_u32 v10, v5, v10
	v_mov_b32_e32 v11, v4
	v_lshl_add_u64 v[8:9], v[10:11], 0, v[8:9]
	v_add_co_u32_e32 v8, vcc, v8, v18
	v_mul_hi_u32 v14, v12, v13
	s_nop 0
	v_addc_co_u32_e32 v8, vcc, v9, v15, vcc
	v_mul_lo_u32 v10, v12, v13
	s_nop 0
	v_addc_co_u32_e32 v11, vcc, 0, v14, vcc
	v_mov_b32_e32 v9, v4
	v_lshl_add_u64 v[8:9], v[8:9], 0, v[10:11]
	v_add_co_u32_e32 v5, vcc, v5, v8
	v_mul_hi_u32 v10, v6, v5
	s_nop 0
	v_addc_co_u32_e32 v12, vcc, v12, v9, vcc
	v_mad_u64_u32 v[8:9], s[2:3], v6, v12, 0
	v_mov_b32_e32 v11, v4
	v_lshl_add_u64 v[8:9], v[10:11], 0, v[8:9]
	v_mad_u64_u32 v[10:11], s[2:3], v7, v12, 0
	v_mad_u64_u32 v[12:13], s[2:3], v7, v5, 0
	v_add_co_u32_e32 v5, vcc, v8, v12
	s_nop 1
	v_addc_co_u32_e32 v8, vcc, v9, v13, vcc
	v_mov_b32_e32 v9, v4
	s_nop 0
	v_addc_co_u32_e32 v11, vcc, 0, v11, vcc
	v_lshl_add_u64 v[8:9], v[8:9], 0, v[10:11]
	v_mul_lo_u32 v5, s25, v8
	v_mul_lo_u32 v12, s24, v9
	v_mad_u64_u32 v[10:11], s[2:3], s24, v8, 0
	v_add3_u32 v5, v11, v12, v5
	v_sub_u32_e32 v11, v7, v5
	v_mov_b32_e32 v12, s25
	v_sub_co_u32_e32 v14, vcc, v6, v10
	s_nop 1
	v_subb_co_u32_e64 v10, s[2:3], v11, v12, vcc
	v_subrev_co_u32_e64 v11, s[2:3], s24, v14
	v_subb_co_u32_e32 v5, vcc, v7, v5, vcc
	s_nop 0
	v_subbrev_co_u32_e64 v10, s[2:3], 0, v10, s[2:3]
	v_cmp_le_u32_e64 s[2:3], s25, v10
	v_cmp_le_u32_e32 vcc, s25, v5
	s_nop 0
	v_cndmask_b32_e64 v12, 0, -1, s[2:3]
	v_cmp_le_u32_e64 s[2:3], s24, v11
	s_nop 1
	v_cndmask_b32_e64 v11, 0, -1, s[2:3]
	v_cmp_eq_u32_e64 s[2:3], s25, v10
	s_nop 1
	v_cndmask_b32_e64 v15, v12, v11, s[2:3]
	v_lshl_add_u64 v[10:11], v[8:9], 0, 2
	v_lshl_add_u64 v[12:13], v[8:9], 0, 1
	v_cmp_ne_u32_e64 s[2:3], 0, v15
	s_nop 1
	v_cndmask_b32_e64 v11, v13, v11, s[2:3]
	v_cndmask_b32_e64 v13, 0, -1, vcc
	v_cmp_le_u32_e32 vcc, s24, v14
	s_nop 1
	v_cndmask_b32_e64 v14, 0, -1, vcc
	v_cmp_eq_u32_e32 vcc, s25, v5
	s_nop 1
	v_cndmask_b32_e32 v5, v13, v14, vcc
	v_cmp_ne_u32_e32 vcc, 0, v5
	v_cndmask_b32_e64 v5, v12, v10, s[2:3]
	s_nop 0
	v_cndmask_b32_e32 v19, v9, v11, vcc
	v_cndmask_b32_e32 v18, v8, v5, vcc
.LBB0_4:                                ;   in Loop: Header=BB0_2 Depth=1
	s_andn2_saveexec_b64 s[2:3], s[26:27]
	s_cbranch_execz .LBB0_6
; %bb.5:                                ;   in Loop: Header=BB0_2 Depth=1
	v_cvt_f32_u32_e32 v5, s24
	s_sub_i32 s26, 0, s24
	v_mov_b32_e32 v19, v4
	v_rcp_iflag_f32_e32 v5, v5
	s_nop 0
	v_mul_f32_e32 v5, 0x4f7ffffe, v5
	v_cvt_u32_f32_e32 v5, v5
	v_mul_lo_u32 v8, s26, v5
	v_mul_hi_u32 v8, v5, v8
	v_add_u32_e32 v5, v5, v8
	v_mul_hi_u32 v5, v6, v5
	v_mul_lo_u32 v8, v5, s24
	v_sub_u32_e32 v8, v6, v8
	v_add_u32_e32 v9, 1, v5
	v_subrev_u32_e32 v10, s24, v8
	v_cmp_le_u32_e32 vcc, s24, v8
	s_nop 1
	v_cndmask_b32_e32 v8, v8, v10, vcc
	v_cndmask_b32_e32 v5, v5, v9, vcc
	v_add_u32_e32 v9, 1, v5
	v_cmp_le_u32_e32 vcc, s24, v8
	s_nop 1
	v_cndmask_b32_e32 v18, v5, v9, vcc
.LBB0_6:                                ;   in Loop: Header=BB0_2 Depth=1
	s_or_b64 exec, exec, s[2:3]
	v_mad_u64_u32 v[8:9], s[2:3], v18, s24, 0
	s_load_dwordx2 s[2:3], s[18:19], 0x0
	v_mul_lo_u32 v5, v19, s24
	v_mul_lo_u32 v10, v18, s25
	s_load_dwordx2 s[24:25], s[16:17], 0x0
	s_add_u32 s22, s22, 1
	v_add3_u32 v5, v9, v10, v5
	v_sub_co_u32_e32 v6, vcc, v6, v8
	s_addc_u32 s23, s23, 0
	s_nop 0
	v_subb_co_u32_e32 v5, vcc, v7, v5, vcc
	s_add_u32 s16, s16, 8
	s_waitcnt lgkmcnt(0)
	v_mul_lo_u32 v7, s2, v5
	v_mul_lo_u32 v8, s3, v6
	v_mad_u64_u32 v[2:3], s[2:3], s2, v6, v[2:3]
	s_addc_u32 s17, s17, 0
	v_add3_u32 v3, v8, v3, v7
	v_mul_lo_u32 v5, s24, v5
	v_mul_lo_u32 v7, s25, v6
	v_mad_u64_u32 v[16:17], s[2:3], s24, v6, v[16:17]
	s_add_u32 s18, s18, 8
	v_add3_u32 v17, v7, v17, v5
	s_addc_u32 s19, s19, 0
	v_mov_b64_e32 v[6:7], s[10:11]
	s_add_u32 s20, s20, 8
	v_cmp_ge_u64_e32 vcc, s[22:23], v[6:7]
	s_addc_u32 s21, s21, 0
	s_cbranch_vccnz .LBB0_9
; %bb.7:                                ;   in Loop: Header=BB0_2 Depth=1
	v_mov_b64_e32 v[6:7], v[18:19]
	s_branch .LBB0_2
.LBB0_8:
	v_mov_b64_e32 v[16:17], v[2:3]
	v_mov_b64_e32 v[18:19], v[6:7]
.LBB0_9:
	s_load_dwordx2 s[2:3], s[0:1], 0x28
	s_lshl_b64 s[16:17], s[10:11], 3
	s_add_u32 s10, s14, s16
	v_and_b32_e32 v1, 1, v1
	s_addc_u32 s11, s15, s17
	v_cmp_eq_u32_e32 vcc, 1, v1
	v_mov_b32_e32 v1, 0x385
	s_waitcnt lgkmcnt(0)
	v_cmp_gt_u64_e64 s[0:1], s[2:3], v[18:19]
	v_cmp_le_u64_e64 s[2:3], s[2:3], v[18:19]
                                        ; implicit-def: $vgpr20
	s_and_saveexec_b64 s[14:15], s[2:3]
	s_xor_b64 s[2:3], exec, s[14:15]
; %bb.10:
	s_mov_b32 s14, 0x2d82d83
	v_mul_hi_u32 v2, v0, s14
	v_mul_u32_u24_e32 v2, 0x5a, v2
	v_sub_u32_e32 v20, v0, v2
                                        ; implicit-def: $vgpr0
                                        ; implicit-def: $vgpr2_vgpr3
; %bb.11:
	s_or_saveexec_b64 s[2:3], s[2:3]
	s_load_dwordx2 s[10:11], s[10:11], 0x0
	v_cndmask_b32_e32 v4, 0, v1, vcc
	v_lshlrev_b32_e32 v36, 3, v4
	s_xor_b64 exec, exec, s[2:3]
	s_cbranch_execz .LBB0_15
; %bb.12:
	s_add_u32 s12, s12, s16
	s_addc_u32 s13, s13, s17
	s_load_dwordx2 s[12:13], s[12:13], 0x0
	s_mov_b32 s14, 0x2d82d83
	s_waitcnt lgkmcnt(0)
	v_mul_lo_u32 v1, s13, v18
	v_mul_lo_u32 v5, s12, v19
	v_mad_u64_u32 v[6:7], s[12:13], s12, v18, 0
	v_add3_u32 v7, v7, v5, v1
	v_mul_hi_u32 v1, v0, s14
	v_mul_u32_u24_e32 v1, 0x5a, v1
	v_sub_u32_e32 v20, v0, v1
	v_lshl_add_u64 v[0:1], v[6:7], 3, s[4:5]
	v_lshl_add_u64 v[0:1], v[2:3], 3, v[0:1]
	v_lshlrev_b32_e32 v2, 3, v20
	v_mov_b32_e32 v3, 0
	v_lshl_add_u64 v[6:7], v[0:1], 0, v[2:3]
	s_movk_i32 s4, 0x1000
	v_add_co_u32_e32 v22, vcc, s4, v6
	global_load_dwordx2 v[8:9], v[6:7], off
	global_load_dwordx2 v[10:11], v[6:7], off offset:720
	global_load_dwordx2 v[12:13], v[6:7], off offset:1440
	;; [unrolled: 1-line block ×3, first 2 shown]
	v_addc_co_u32_e32 v23, vcc, 0, v7, vcc
	global_load_dwordx2 v[24:25], v[6:7], off offset:2880
	global_load_dwordx2 v[26:27], v[6:7], off offset:3600
	;; [unrolled: 1-line block ×6, first 2 shown]
	s_movk_i32 s4, 0x59
	v_add3_u32 v2, 0, v36, v2
	v_cmp_eq_u32_e32 vcc, s4, v20
	v_add_u32_e32 v3, 0x400, v2
	v_add_u32_e32 v5, 0x800, v2
	v_add_u32_e32 v6, 0x1000, v2
	v_add_u32_e32 v7, 0x1400, v2
	s_waitcnt vmcnt(8)
	ds_write2_b64 v2, v[8:9], v[10:11] offset1:90
	s_waitcnt vmcnt(6)
	ds_write2_b64 v3, v[12:13], v[14:15] offset0:52 offset1:142
	s_waitcnt vmcnt(4)
	ds_write2_b64 v5, v[24:25], v[26:27] offset0:104 offset1:194
	;; [unrolled: 2-line block ×4, first 2 shown]
	s_and_saveexec_b64 s[4:5], vcc
	s_cbranch_execz .LBB0_14
; %bb.13:
	v_add_co_u32_e32 v0, vcc, 0x1000, v0
	v_mov_b32_e32 v20, 0x59
	s_nop 0
	v_addc_co_u32_e32 v1, vcc, 0, v1, vcc
	global_load_dwordx2 v[0:1], v[0:1], off offset:3104
	s_waitcnt vmcnt(0)
	ds_write_b64 v2, v[0:1] offset:6488
.LBB0_14:
	s_or_b64 exec, exec, s[4:5]
.LBB0_15:
	s_or_b64 exec, exec, s[2:3]
	v_lshl_add_u32 v35, v4, 3, 0
	v_lshlrev_b32_e32 v0, 3, v20
	v_add_u32_e32 v33, v35, v0
	s_waitcnt lgkmcnt(0)
	s_barrier
	v_sub_u32_e32 v4, v35, v0
	ds_read_b32 v1, v33
	ds_read_b32 v2, v4 offset:7200
	s_add_u32 s2, s8, 0x1bd0
	s_addc_u32 s3, s9, 0
	v_cmp_ne_u32_e32 vcc, 0, v20
	s_waitcnt lgkmcnt(0)
	v_add_f32_e32 v0, v2, v1
	v_sub_f32_e32 v1, v1, v2
                                        ; implicit-def: $vgpr2_vgpr3
	s_and_saveexec_b64 s[4:5], vcc
	s_xor_b64 s[4:5], exec, s[4:5]
	s_cbranch_execz .LBB0_17
; %bb.16:
	v_mov_b32_e32 v21, 0
	v_lshl_add_u64 v[2:3], v[20:21], 3, s[2:3]
	global_load_dwordx2 v[6:7], v[2:3], off
	ds_read_b32 v5, v4 offset:7204
	ds_read_b32 v11, v33 offset:4
	v_mov_b32_e32 v8, v1
	v_mov_b32_e32 v10, v0
	;; [unrolled: 1-line block ×3, first 2 shown]
	v_mov_b64_e32 v[2:3], v[20:21]
	s_waitcnt lgkmcnt(0)
	v_add_f32_e32 v9, v5, v11
	v_sub_f32_e32 v11, v11, v5
	v_mov_b32_e32 v12, v9
	s_waitcnt vmcnt(0)
	v_pk_mul_f32 v[14:15], v[8:9], v[6:7] op_sel:[0,1]
	v_pk_fma_f32 v[8:9], v[8:9], v[6:7], v[10:11] op_sel:[0,1,0]
	v_mov_b32_e32 v1, v15
	v_mov_b32_e32 v15, v11
	v_pk_fma_f32 v[22:23], v[6:7], v[12:13], v[8:9] neg_lo:[1,0,0] neg_hi:[1,0,0]
	v_pk_fma_f32 v[8:9], v[6:7], v[12:13], v[8:9] op_sel_hi:[0,1,1]
	v_pk_add_f32 v[0:1], v[0:1], v[14:15] neg_lo:[0,1] neg_hi:[0,1]
	v_mov_b32_e32 v23, v9
	v_pk_fma_f32 v[0:1], v[6:7], v[12:13], v[0:1] op_sel_hi:[0,1,1]
	ds_write_b64 v4, v[0:1] offset:7200
	v_mov_b64_e32 v[0:1], v[22:23]
.LBB0_17:
	s_andn2_saveexec_b64 s[4:5], s[4:5]
	s_cbranch_execz .LBB0_19
; %bb.18:
	ds_read_b64 v[2:3], v35 offset:3600
	s_mov_b32 s12, 2.0
	s_mov_b32 s13, -2.0
	s_waitcnt lgkmcnt(0)
	v_pk_mul_f32 v[2:3], v[2:3], s[12:13]
	ds_write_b64 v35, v[2:3] offset:3600
	v_mov_b64_e32 v[2:3], 0
.LBB0_19:
	s_or_b64 exec, exec, s[4:5]
	v_lshl_add_u64 v[2:3], v[2:3], 3, s[2:3]
	global_load_dwordx2 v[6:7], v[2:3], off offset:720
	global_load_dwordx2 v[8:9], v[2:3], off offset:1440
	;; [unrolled: 1-line block ×4, first 2 shown]
	ds_write_b64 v33, v[0:1]
	ds_read_b64 v[0:1], v4 offset:6480
	ds_read_b64 v[2:3], v33 offset:720
	v_lshl_add_u32 v5, v20, 3, 0
	s_movk_i32 s3, 0x48
	v_add_u32_e32 v21, v5, v36
	v_mad_u32_u24 v37, v20, s3, v5
	s_waitcnt lgkmcnt(0)
	v_pk_add_f32 v[14:15], v[2:3], v[0:1]
	v_pk_add_f32 v[0:1], v[2:3], v[0:1] neg_lo:[0,1] neg_hi:[0,1]
	v_mov_b32_e32 v2, v15
	v_mov_b32_e32 v3, v0
	;; [unrolled: 1-line block ×3, first 2 shown]
	v_add_u32_e32 v32, 0x800, v21
	v_add_u32_e32 v34, 0xc00, v21
	;; [unrolled: 1-line block ×3, first 2 shown]
	s_mov_b32 s4, 0x3f737871
	s_mov_b32 s12, 0x3f167918
	;; [unrolled: 1-line block ×5, first 2 shown]
	v_add_u32_e32 v59, v37, v36
	s_mov_b32 s16, 0x3f4f1bbd
	s_mov_b32 s18, 0xbf167918
	;; [unrolled: 1-line block ×3, first 2 shown]
	v_cmp_gt_u32_e32 vcc, 30, v20
	s_waitcnt vmcnt(3)
	v_pk_mul_f32 v[22:23], v[2:3], v[6:7] op_sel:[0,1]
	s_nop 0
	v_pk_add_f32 v[24:25], v[14:15], v[22:23] op_sel:[0,1] op_sel_hi:[1,0]
	v_mov_b32_e32 v15, v22
	v_mov_b32_e32 v0, v23
	v_pk_fma_f32 v[22:23], v[6:7], v[2:3], v[24:25] neg_lo:[1,0,0] neg_hi:[1,0,0]
	v_pk_fma_f32 v[24:25], v[6:7], v[2:3], v[24:25] op_sel_hi:[0,1,1]
	v_pk_add_f32 v[0:1], v[14:15], v[0:1] neg_lo:[0,1] neg_hi:[0,1]
	v_mov_b32_e32 v23, v25
	v_pk_fma_f32 v[0:1], v[6:7], v[2:3], v[0:1] op_sel_hi:[0,1,1]
	ds_write_b64 v33, v[22:23] offset:720
	ds_write_b64 v4, v[0:1] offset:6480
	ds_read_b64 v[0:1], v4 offset:5760
	ds_read_b64 v[2:3], v33 offset:1440
	s_waitcnt lgkmcnt(0)
	v_pk_add_f32 v[6:7], v[2:3], v[0:1]
	v_pk_add_f32 v[0:1], v[2:3], v[0:1] neg_lo:[0,1] neg_hi:[0,1]
	v_mov_b32_e32 v2, v7
	v_mov_b32_e32 v3, v0
	v_mov_b32_e32 v7, v1
	s_waitcnt vmcnt(2)
	v_pk_mul_f32 v[14:15], v[2:3], v[8:9] op_sel:[0,1]
	s_nop 0
	v_pk_add_f32 v[22:23], v[6:7], v[14:15] op_sel:[0,1] op_sel_hi:[1,0]
	v_mov_b32_e32 v7, v14
	v_mov_b32_e32 v0, v15
	v_pk_fma_f32 v[14:15], v[8:9], v[2:3], v[22:23] neg_lo:[1,0,0] neg_hi:[1,0,0]
	v_pk_fma_f32 v[22:23], v[8:9], v[2:3], v[22:23] op_sel_hi:[0,1,1]
	v_pk_add_f32 v[0:1], v[6:7], v[0:1] neg_lo:[0,1] neg_hi:[0,1]
	v_mov_b32_e32 v15, v23
	v_pk_fma_f32 v[0:1], v[8:9], v[2:3], v[0:1] op_sel_hi:[0,1,1]
	ds_write_b64 v33, v[14:15] offset:1440
	ds_write_b64 v4, v[0:1] offset:5760
	ds_read_b64 v[0:1], v4 offset:5040
	ds_read_b64 v[2:3], v33 offset:2160
	s_waitcnt lgkmcnt(0)
	v_pk_add_f32 v[6:7], v[2:3], v[0:1]
	v_pk_add_f32 v[0:1], v[2:3], v[0:1] neg_lo:[0,1] neg_hi:[0,1]
	v_mov_b32_e32 v2, v7
	v_mov_b32_e32 v3, v0
	v_mov_b32_e32 v7, v1
	;; [unrolled: 21-line block ×3, first 2 shown]
	s_waitcnt vmcnt(0)
	v_pk_mul_f32 v[8:9], v[2:3], v[12:13] op_sel:[0,1]
	s_nop 0
	v_pk_add_f32 v[10:11], v[6:7], v[8:9] op_sel:[0,1] op_sel_hi:[1,0]
	v_mov_b32_e32 v7, v8
	v_mov_b32_e32 v0, v9
	v_pk_fma_f32 v[8:9], v[12:13], v[2:3], v[10:11] neg_lo:[1,0,0] neg_hi:[1,0,0]
	v_pk_fma_f32 v[10:11], v[12:13], v[2:3], v[10:11] op_sel_hi:[0,1,1]
	v_pk_add_f32 v[0:1], v[6:7], v[0:1] neg_lo:[0,1] neg_hi:[0,1]
	v_mov_b32_e32 v9, v11
	v_pk_fma_f32 v[0:1], v[12:13], v[2:3], v[0:1] op_sel_hi:[0,1,1]
	ds_write_b64 v33, v[8:9] offset:2880
	ds_write_b64 v4, v[0:1] offset:4320
	s_waitcnt lgkmcnt(0)
	s_barrier
	s_barrier
	ds_read2_b64 v[0:3], v21 offset0:90 offset1:180
	ds_read2_b64 v[4:7], v32 offset0:14 offset1:104
	ds_read_b64 v[22:23], v33
	ds_read2_b64 v[8:11], v34 offset0:66 offset1:156
	ds_read2_b64 v[12:15], v58 offset0:118 offset1:208
	ds_read_b64 v[24:25], v21 offset:6480
	s_waitcnt lgkmcnt(4)
	v_pk_add_f32 v[40:41], v[2:3], v[6:7] neg_lo:[0,1] neg_hi:[0,1]
	s_waitcnt lgkmcnt(3)
	v_pk_add_f32 v[26:27], v[22:23], v[2:3]
	s_waitcnt lgkmcnt(2)
	v_pk_add_f32 v[28:29], v[6:7], v[10:11]
	s_waitcnt lgkmcnt(1)
	v_pk_add_f32 v[30:31], v[2:3], v[14:15] neg_lo:[0,1] neg_hi:[0,1]
	v_pk_add_f32 v[42:43], v[14:15], v[10:11] neg_lo:[0,1] neg_hi:[0,1]
	v_pk_add_f32 v[44:45], v[2:3], v[14:15]
	v_pk_add_f32 v[50:51], v[8:9], v[12:13] neg_lo:[0,1] neg_hi:[0,1]
	s_waitcnt lgkmcnt(0)
	v_pk_add_f32 v[52:53], v[4:5], v[24:25]
	v_pk_add_f32 v[38:39], v[6:7], v[10:11] neg_lo:[0,1] neg_hi:[0,1]
	v_pk_add_f32 v[2:3], v[6:7], v[2:3] neg_lo:[0,1] neg_hi:[0,1]
	;; [unrolled: 1-line block ×4, first 2 shown]
	v_pk_add_f32 v[6:7], v[26:27], v[6:7]
	v_pk_fma_f32 v[26:27], v[28:29], 0.5, v[22:23] op_sel_hi:[1,0,1] neg_lo:[1,0,0] neg_hi:[1,0,0]
	v_pk_mul_f32 v[28:29], v[30:31], s[4:5] op_sel_hi:[1,0]
	v_pk_add_f32 v[40:41], v[40:41], v[42:43]
	v_pk_fma_f32 v[22:23], v[44:45], 0.5, v[22:23] op_sel_hi:[1,0,1] neg_lo:[1,0,0] neg_hi:[1,0,0]
	v_pk_fma_f32 v[42:43], v[52:53], 0.5, v[0:1] op_sel_hi:[1,0,1] neg_lo:[1,0,0] neg_hi:[1,0,0]
	v_pk_mul_f32 v[44:45], v[50:51], s[4:5] op_sel_hi:[1,0]
	v_pk_mul_f32 v[56:57], v[38:39], s[12:13] op_sel_hi:[1,0]
	v_pk_add_f32 v[2:3], v[2:3], v[46:47]
	v_pk_mul_f32 v[46:47], v[48:49], s[12:13] op_sel_hi:[1,0]
	v_pk_add_f32 v[6:7], v[6:7], v[10:11]
	v_pk_add_f32 v[10:11], v[26:27], v[28:29] op_sel:[0,1] op_sel_hi:[1,0]
	v_pk_add_f32 v[26:27], v[26:27], v[28:29] op_sel:[0,1] op_sel_hi:[1,0] neg_lo:[0,1] neg_hi:[0,1]
	v_pk_add_f32 v[28:29], v[42:43], v[44:45] op_sel:[0,1] op_sel_hi:[1,0] neg_lo:[0,1] neg_hi:[0,1]
	v_pk_add_f32 v[42:43], v[42:43], v[44:45] op_sel:[0,1] op_sel_hi:[1,0]
	v_pk_add_f32 v[54:55], v[8:9], v[4:5] neg_lo:[0,1] neg_hi:[0,1]
	v_pk_add_f32 v[6:7], v[6:7], v[14:15]
	v_pk_add_f32 v[14:15], v[26:27], v[56:57] op_sel:[0,1] op_sel_hi:[1,0] neg_lo:[0,1] neg_hi:[0,1]
	v_pk_add_f32 v[26:27], v[12:13], v[24:25] neg_lo:[0,1] neg_hi:[0,1]
	v_pk_add_f32 v[42:43], v[42:43], v[46:47] op_sel:[0,1] op_sel_hi:[1,0] neg_lo:[0,1] neg_hi:[0,1]
	v_pk_add_f32 v[28:29], v[28:29], v[46:47] op_sel:[0,1] op_sel_hi:[1,0]
	v_pk_add_f32 v[26:27], v[54:55], v[26:27]
	v_mov_b32_e32 v44, v28
	v_mov_b32_e32 v45, v43
	v_pk_fma_f32 v[44:45], v[26:27], s[2:3], v[44:45] op_sel_hi:[1,0,1]
	v_pk_mul_f32 v[38:39], v[38:39], s[4:5] op_sel_hi:[1,0]
	v_pk_mul_f32 v[46:47], v[44:45], s[4:5] op_sel_hi:[1,0]
	v_pk_mul_f32 v[30:31], v[30:31], s[12:13] op_sel_hi:[1,0]
	v_pk_fma_f32 v[52:53], v[44:45], s[2:3], v[46:47] op_sel:[0,0,1] op_sel_hi:[1,0,0]
	v_pk_fma_f32 v[44:45], v[44:45], s[2:3], v[46:47] op_sel:[0,0,1] op_sel_hi:[1,0,0] neg_lo:[0,0,1] neg_hi:[0,0,1]
	v_mov_b32_e32 v43, v29
	v_mov_b32_e32 v53, v45
	v_pk_add_f32 v[44:45], v[22:23], v[38:39] op_sel:[0,1] op_sel_hi:[1,0] neg_lo:[0,1] neg_hi:[0,1]
	v_pk_add_f32 v[22:23], v[22:23], v[38:39] op_sel:[0,1] op_sel_hi:[1,0]
	v_pk_fma_f32 v[26:27], v[26:27], s[2:3], v[42:43] op_sel_hi:[1,0,1]
	v_pk_add_f32 v[22:23], v[22:23], v[30:31] op_sel:[0,1] op_sel_hi:[1,0] neg_lo:[0,1] neg_hi:[0,1]
	v_pk_add_f32 v[30:31], v[44:45], v[30:31] op_sel:[0,1] op_sel_hi:[1,0]
	v_mov_b32_e32 v29, v23
	v_mov_b32_e32 v28, v30
	v_pk_mul_f32 v[42:43], v[26:27], s[2:3] op_sel_hi:[1,0]
	v_mov_b32_e32 v23, v31
	v_pk_fma_f32 v[28:29], v[2:3], s[2:3], v[28:29] op_sel_hi:[1,0,1]
	v_pk_fma_f32 v[26:27], v[26:27], s[14:15], v[42:43] op_sel:[0,0,1] op_sel_hi:[1,1,0] neg_lo:[0,0,1] neg_hi:[0,0,1]
	v_pk_fma_f32 v[2:3], v[2:3], s[2:3], v[22:23] op_sel_hi:[1,0,1]
	v_pk_add_f32 v[42:43], v[28:29], v[52:53]
	v_pk_add_f32 v[22:23], v[2:3], v[26:27] op_sel:[0,1] op_sel_hi:[1,0]
	v_pk_add_f32 v[10:11], v[10:11], v[56:57] op_sel:[0,1] op_sel_hi:[1,0]
	v_pk_add_f32 v[46:47], v[0:1], v[4:5]
	s_barrier
	ds_write2_b64 v59, v[42:43], v[22:23] offset0:2 offset1:3
	v_pk_add_f32 v[22:23], v[8:9], v[12:13]
	v_pk_add_f32 v[46:47], v[46:47], v[8:9]
	v_mov_b32_e32 v44, v10
	v_mov_b32_e32 v45, v15
	v_pk_fma_f32 v[0:1], v[22:23], 0.5, v[0:1] op_sel_hi:[1,0,1] neg_lo:[1,0,0] neg_hi:[1,0,0]
	v_pk_add_f32 v[4:5], v[4:5], v[8:9] neg_lo:[0,1] neg_hi:[0,1]
	v_pk_add_f32 v[8:9], v[24:25], v[12:13] neg_lo:[0,1] neg_hi:[0,1]
	v_mov_b32_e32 v15, v11
	v_pk_mul_f32 v[10:11], v[48:49], s[4:5] op_sel_hi:[1,0]
	v_pk_add_f32 v[46:47], v[46:47], v[12:13]
	v_pk_add_f32 v[4:5], v[4:5], v[8:9]
	v_pk_fma_f32 v[8:9], v[40:41], s[2:3], v[14:15] op_sel_hi:[1,0,1]
	v_pk_add_f32 v[12:13], v[0:1], v[10:11] op_sel:[0,1] op_sel_hi:[1,0]
	v_pk_mul_f32 v[14:15], v[50:51], s[12:13] op_sel_hi:[1,0]
	v_pk_add_f32 v[0:1], v[0:1], v[10:11] op_sel:[0,1] op_sel_hi:[1,0] neg_lo:[0,1] neg_hi:[0,1]
	v_pk_add_f32 v[12:13], v[14:15], v[12:13] op_sel:[1,0] op_sel_hi:[0,1]
	v_pk_add_f32 v[0:1], v[0:1], v[14:15] op_sel:[0,1] op_sel_hi:[1,0] neg_lo:[0,1] neg_hi:[0,1]
	v_pk_fma_f32 v[22:23], v[4:5], s[2:3], v[12:13] op_sel_hi:[1,0,1]
	v_pk_fma_f32 v[10:11], v[4:5], s[2:3], v[0:1] op_sel_hi:[1,0,1]
	v_mov_b32_e32 v1, v13
	v_pk_fma_f32 v[0:1], v[4:5], s[2:3], v[0:1] op_sel_hi:[1,0,1]
	s_mov_b32 s13, s16
	v_pk_mul_f32 v[4:5], v[0:1], s[16:17] op_sel_hi:[1,0]
	s_mov_b32 s17, s12
	v_pk_fma_f32 v[0:1], v[0:1], s[18:19], v[4:5] op_sel:[0,0,1] op_sel_hi:[1,1,0] neg_lo:[0,0,1] neg_hi:[0,0,1]
	v_pk_mul_f32 v[4:5], v[22:23], s[16:17] op_sel_hi:[0,1]
	v_pk_fma_f32 v[12:13], v[10:11], s[12:13], v[4:5] op_sel:[1,0,0]
	v_pk_fma_f32 v[4:5], v[10:11], s[12:13], v[4:5] op_sel:[1,0,0] neg_lo:[0,0,1] neg_hi:[0,0,1]
	v_pk_add_f32 v[46:47], v[46:47], v[24:25]
	v_pk_fma_f32 v[44:45], v[40:41], s[2:3], v[44:45] op_sel_hi:[1,0,1]
	v_mov_b32_e32 v13, v5
	v_pk_add_f32 v[38:39], v[6:7], v[46:47]
	v_pk_add_f32 v[4:5], v[44:45], v[12:13]
	v_pk_add_f32 v[10:11], v[8:9], v[0:1] op_sel:[1,0] op_sel_hi:[0,1]
	ds_write2_b64 v59, v[38:39], v[4:5] offset1:1
	v_pk_add_f32 v[4:5], v[6:7], v[46:47] neg_lo:[0,1] neg_hi:[0,1]
	v_mov_b32_e32 v6, v11
	v_mov_b32_e32 v7, v10
	ds_write2_b64 v59, v[6:7], v[4:5] offset0:4 offset1:5
	v_pk_add_f32 v[4:5], v[44:45], v[12:13] neg_lo:[0,1] neg_hi:[0,1]
	v_pk_add_f32 v[6:7], v[28:29], v[52:53] neg_lo:[0,1] neg_hi:[0,1]
	v_pk_add_f32 v[0:1], v[8:9], v[0:1] op_sel:[1,0] op_sel_hi:[0,1] neg_lo:[0,1] neg_hi:[0,1]
	s_movk_i32 s3, 0xcd
	ds_write2_b64 v59, v[4:5], v[6:7] offset0:6 offset1:7
	v_mov_b32_e32 v5, v0
	v_mul_lo_u16_sdwa v0, v20, s3 dst_sel:DWORD dst_unused:UNUSED_PAD src0_sel:BYTE_0 src1_sel:DWORD
	v_lshrrev_b16_e32 v42, 11, v0
	v_mul_lo_u16_e32 v0, 10, v42
	v_sub_u16_e32 v43, v20, v0
	v_mov_b32_e32 v0, 9
	v_mul_u32_u24_sdwa v0, v43, v0 dst_sel:DWORD dst_unused:UNUSED_PAD src0_sel:BYTE_0 src1_sel:DWORD
	v_pk_add_f32 v[2:3], v[2:3], v[26:27] op_sel:[0,1] op_sel_hi:[1,0] neg_lo:[0,1] neg_hi:[0,1]
	v_mov_b32_e32 v4, v1
	v_lshlrev_b32_e32 v22, 3, v0
	ds_write2_b64 v59, v[2:3], v[4:5] offset0:8 offset1:9
	s_waitcnt lgkmcnt(0)
	s_barrier
	global_load_dwordx4 v[0:3], v22, s[8:9]
	global_load_dwordx4 v[4:7], v22, s[8:9] offset:16
	global_load_dwordx4 v[8:11], v22, s[8:9] offset:32
	;; [unrolled: 1-line block ×3, first 2 shown]
	global_load_dwordx2 v[30:31], v22, s[8:9] offset:64
	ds_read2_b64 v[22:25], v21 offset0:90 offset1:180
	ds_read2_b64 v[26:29], v32 offset0:14 offset1:104
	;; [unrolled: 1-line block ×3, first 2 shown]
	s_movk_i32 s3, 0x320
	v_mov_b32_e32 v44, 3
	v_mad_u32_u24 v42, v42, s3, 0
	v_lshlrev_b32_sdwa v43, v44, v43 dst_sel:DWORD dst_unused:UNUSED_PAD src0_sel:DWORD src1_sel:BYTE_0
	v_add3_u32 v60, v42, v43, v36
	ds_read2_b64 v[42:45], v58 offset0:118 offset1:208
	ds_read_b64 v[46:47], v33
	ds_read_b64 v[48:49], v21 offset:6480
	s_waitcnt lgkmcnt(0)
	s_barrier
	s_waitcnt vmcnt(4)
	v_pk_mul_f32 v[50:51], v[0:1], v[22:23] op_sel:[0,1]
	s_nop 0
	v_pk_fma_f32 v[52:53], v[0:1], v[22:23], v[50:51] op_sel:[0,0,1] op_sel_hi:[1,1,0] neg_lo:[0,0,1] neg_hi:[0,0,1]
	v_pk_fma_f32 v[0:1], v[0:1], v[22:23], v[50:51] op_sel:[0,0,1] op_sel_hi:[1,0,0]
	s_nop 0
	v_mov_b32_e32 v53, v1
	v_pk_mul_f32 v[0:1], v[2:3], v[24:25] op_sel:[0,1]
	s_nop 0
	v_pk_fma_f32 v[22:23], v[2:3], v[24:25], v[0:1] op_sel:[0,0,1] op_sel_hi:[1,1,0] neg_lo:[0,0,1] neg_hi:[0,0,1]
	v_pk_fma_f32 v[0:1], v[2:3], v[24:25], v[0:1] op_sel:[0,0,1] op_sel_hi:[1,0,0]
	s_nop 0
	v_mov_b32_e32 v23, v1
	s_waitcnt vmcnt(3)
	v_pk_mul_f32 v[0:1], v[4:5], v[26:27] op_sel:[0,1]
	s_nop 0
	v_pk_fma_f32 v[2:3], v[4:5], v[26:27], v[0:1] op_sel:[0,0,1] op_sel_hi:[1,1,0] neg_lo:[0,0,1] neg_hi:[0,0,1]
	v_pk_fma_f32 v[0:1], v[4:5], v[26:27], v[0:1] op_sel:[0,0,1] op_sel_hi:[1,0,0]
	s_nop 0
	v_mov_b32_e32 v3, v1
	v_pk_mul_f32 v[0:1], v[6:7], v[28:29] op_sel:[0,1]
	s_nop 0
	v_pk_fma_f32 v[4:5], v[6:7], v[28:29], v[0:1] op_sel:[0,0,1] op_sel_hi:[1,1,0] neg_lo:[0,0,1] neg_hi:[0,0,1]
	v_pk_fma_f32 v[0:1], v[6:7], v[28:29], v[0:1] op_sel:[0,0,1] op_sel_hi:[1,0,0]
	s_waitcnt vmcnt(2)
	v_pk_mul_f32 v[6:7], v[8:9], v[38:39] op_sel:[0,1]
	v_mov_b32_e32 v0, v11
	v_pk_fma_f32 v[24:25], v[8:9], v[38:39], v[6:7] op_sel:[0,0,1] op_sel_hi:[1,1,0] neg_lo:[0,0,1] neg_hi:[0,0,1]
	v_pk_fma_f32 v[6:7], v[8:9], v[38:39], v[6:7] op_sel:[0,0,1] op_sel_hi:[1,0,0]
	v_mov_b32_e32 v5, v1
	v_mov_b32_e32 v25, v7
	v_pk_mul_f32 v[6:7], v[40:41], v[0:1] op_sel_hi:[1,0]
	s_waitcnt vmcnt(1)
	v_mov_b32_e32 v0, v15
	v_pk_fma_f32 v[8:9], v[40:41], v[10:11], v[6:7] op_sel:[0,0,1] op_sel_hi:[1,1,0] neg_lo:[0,0,1] neg_hi:[0,0,1]
	v_pk_fma_f32 v[6:7], v[40:41], v[10:11], v[6:7] op_sel:[0,0,1] op_sel_hi:[1,0,0]
	v_pk_mul_f32 v[10:11], v[42:43], v[12:13] op_sel:[0,1]
	v_mov_b32_e32 v9, v7
	v_pk_fma_f32 v[26:27], v[42:43], v[12:13], v[10:11] op_sel:[0,0,1] op_sel_hi:[1,1,0] neg_lo:[0,0,1] neg_hi:[0,0,1]
	v_pk_fma_f32 v[10:11], v[42:43], v[12:13], v[10:11] op_sel:[0,0,1] op_sel_hi:[1,0,0]
	v_pk_add_f32 v[38:39], v[2:3], v[24:25] neg_lo:[0,1] neg_hi:[0,1]
	v_mov_b32_e32 v27, v11
	v_pk_mul_f32 v[10:11], v[44:45], v[0:1] op_sel_hi:[1,0]
	v_pk_add_f32 v[56:57], v[24:25], v[26:27] neg_lo:[0,1] neg_hi:[0,1]
	v_pk_fma_f32 v[12:13], v[44:45], v[14:15], v[10:11] op_sel:[0,0,1] op_sel_hi:[1,1,0] neg_lo:[0,0,1] neg_hi:[0,0,1]
	v_pk_fma_f32 v[10:11], v[44:45], v[14:15], v[10:11] op_sel:[0,0,1] op_sel_hi:[1,0,0]
	v_pk_add_f32 v[44:45], v[24:25], v[26:27]
	v_mov_b32_e32 v13, v11
	s_waitcnt vmcnt(0)
	v_pk_mul_f32 v[10:11], v[48:49], v[30:31] op_sel:[0,1]
	v_pk_fma_f32 v[44:45], v[44:45], 0.5, v[52:53] op_sel_hi:[1,0,1] neg_lo:[1,0,0] neg_hi:[1,0,0]
	v_pk_fma_f32 v[14:15], v[48:49], v[30:31], v[10:11] op_sel:[0,0,1] op_sel_hi:[1,1,0] neg_lo:[0,0,1] neg_hi:[0,0,1]
	v_pk_fma_f32 v[10:11], v[48:49], v[30:31], v[10:11] op_sel:[0,0,1] op_sel_hi:[1,0,0]
	v_mov_b32_e32 v0, v1
	v_mov_b32_e32 v15, v11
	v_pk_add_f32 v[48:49], v[2:3], v[14:15] neg_lo:[0,1] neg_hi:[0,1]
	v_pk_add_f32 v[40:41], v[14:15], v[26:27] neg_lo:[0,1] neg_hi:[0,1]
	v_pk_mul_f32 v[50:51], v[48:49], s[4:5] op_sel_hi:[1,0]
	v_mov_b32_e32 v1, v4
	v_mov_b32_e32 v6, v7
	;; [unrolled: 1-line block ×3, first 2 shown]
	v_pk_add_f32 v[54:55], v[44:45], v[50:51] op_sel:[0,1] op_sel_hi:[1,0] neg_lo:[0,1] neg_hi:[0,1]
	v_pk_mul_f32 v[58:59], v[56:57], s[12:13] op_sel_hi:[1,0]
	v_pk_add_f32 v[44:45], v[44:45], v[50:51] op_sel:[0,1] op_sel_hi:[1,0]
	v_pk_add_f32 v[38:39], v[38:39], v[40:41]
	v_pk_add_f32 v[0:1], v[0:1], v[6:7] neg_lo:[0,1] neg_hi:[0,1]
	v_pk_add_f32 v[6:7], v[22:23], v[4:5] neg_lo:[0,1] neg_hi:[0,1]
	;; [unrolled: 1-line block ×3, first 2 shown]
	v_pk_add_f32 v[54:55], v[54:55], v[58:59] op_sel:[0,1] op_sel_hi:[1,0] neg_lo:[0,1] neg_hi:[0,1]
	v_pk_add_f32 v[44:45], v[58:59], v[44:45] op_sel:[1,0] op_sel_hi:[0,1]
	v_pk_add_f32 v[6:7], v[6:7], v[42:43]
	v_pk_mul_f32 v[42:43], v[38:39], s[2:3] op_sel_hi:[1,0]
	v_mov_b32_e32 v50, v44
	v_mov_b32_e32 v44, v45
	;; [unrolled: 1-line block ×4, first 2 shown]
	v_pk_add_f32 v[42:43], v[42:43], v[44:45] op_sel:[1,0] op_sel_hi:[0,1]
	v_pk_add_f32 v[10:11], v[46:47], v[22:23]
	v_pk_fma_f32 v[38:39], v[38:39], s[2:3], v[50:51] op_sel_hi:[1,0,1]
	s_mov_b32 s13, s18
	v_pk_mul_f32 v[44:45], v[42:43], s[16:17] op_sel_hi:[1,0]
	v_pk_add_f32 v[10:11], v[10:11], v[4:5]
	v_pk_fma_f32 v[42:43], v[42:43], s[12:13], v[44:45] op_sel:[0,0,1] op_sel_hi:[1,1,0] neg_lo:[0,0,1] neg_hi:[0,0,1]
	v_pk_mul_f32 v[44:45], v[38:39], s[12:13] op_sel_hi:[1,0]
	v_pk_add_f32 v[10:11], v[10:11], v[8:9]
	v_pk_add_f32 v[28:29], v[4:5], v[8:9]
	;; [unrolled: 1-line block ×3, first 2 shown]
	v_pk_fma_f32 v[50:51], v[38:39], s[16:17], v[44:45] op_sel:[0,0,1] op_sel_hi:[1,0,0]
	v_pk_fma_f32 v[38:39], v[38:39], s[16:17], v[44:45] op_sel:[0,0,1] op_sel_hi:[1,0,0] neg_lo:[0,0,1] neg_hi:[0,0,1]
	v_pk_add_f32 v[4:5], v[4:5], v[22:23] neg_lo:[0,1] neg_hi:[0,1]
	v_pk_add_f32 v[8:9], v[8:9], v[12:13] neg_lo:[0,1] neg_hi:[0,1]
	v_pk_add_f32 v[10:11], v[10:11], v[12:13]
	v_pk_add_f32 v[30:31], v[30:31], v[24:25]
	v_mov_b32_e32 v51, v39
	v_pk_add_f32 v[38:39], v[22:23], v[12:13] neg_lo:[0,1] neg_hi:[0,1]
	v_pk_add_f32 v[44:45], v[22:23], v[12:13]
	v_pk_add_f32 v[4:5], v[4:5], v[8:9]
	;; [unrolled: 1-line block ×3, first 2 shown]
	v_pk_add_f32 v[2:3], v[24:25], v[2:3] neg_lo:[0,1] neg_hi:[0,1]
	v_pk_add_f32 v[12:13], v[26:27], v[14:15] neg_lo:[0,1] neg_hi:[0,1]
	v_pk_add_f32 v[30:31], v[30:31], v[26:27]
	v_pk_fma_f32 v[28:29], v[28:29], 0.5, v[46:47] op_sel_hi:[1,0,1] neg_lo:[1,0,0] neg_hi:[1,0,0]
	v_pk_add_f32 v[2:3], v[2:3], v[12:13]
	v_pk_mul_f32 v[12:13], v[38:39], s[4:5] op_sel_hi:[1,0]
	v_pk_add_f32 v[30:31], v[30:31], v[14:15]
	v_pk_fma_f32 v[44:45], v[44:45], 0.5, v[46:47] op_sel_hi:[1,0,1] neg_lo:[1,0,0] neg_hi:[1,0,0]
	v_pk_add_f32 v[14:15], v[28:29], v[12:13] op_sel:[0,1] op_sel_hi:[1,0] neg_lo:[0,1] neg_hi:[0,1]
	v_pk_add_f32 v[12:13], v[28:29], v[12:13] op_sel:[0,1] op_sel_hi:[1,0]
	v_pk_mul_f32 v[46:47], v[38:39], s[12:13] op_sel_hi:[1,0]
	v_pk_fma_f32 v[12:13], v[0:1], s[12:13], v[12:13] op_sel_hi:[1,0,1]
	v_pk_fma_f32 v[14:15], v[0:1], s[12:13], v[14:15] op_sel_hi:[1,0,1] neg_lo:[1,0,0] neg_hi:[1,0,0]
	v_pk_fma_f32 v[24:25], v[0:1], s[4:5], v[44:45] op_sel_hi:[1,0,1] neg_lo:[1,0,0] neg_hi:[1,0,0]
	v_pk_fma_f32 v[0:1], v[0:1], s[4:5], v[44:45] op_sel_hi:[1,0,1]
	v_pk_add_f32 v[24:25], v[24:25], v[46:47] op_sel:[0,1] op_sel_hi:[1,0]
	v_pk_add_f32 v[0:1], v[0:1], v[46:47] op_sel:[0,1] op_sel_hi:[1,0] neg_lo:[0,1] neg_hi:[0,1]
	v_mov_b32_e32 v26, v24
	v_mov_b32_e32 v27, v1
	v_pk_fma_f32 v[8:9], v[8:9], 0.5, v[52:53] op_sel_hi:[1,0,1] neg_lo:[1,0,0] neg_hi:[1,0,0]
	v_pk_fma_f32 v[28:29], v[4:5], s[2:3], v[26:27] op_sel_hi:[1,0,1]
	v_pk_mul_f32 v[26:27], v[56:57], s[4:5] op_sel_hi:[1,0]
	v_pk_mul_f32 v[38:39], v[48:49], s[12:13] op_sel_hi:[1,0]
	v_pk_add_f32 v[44:45], v[8:9], v[26:27] op_sel:[0,1] op_sel_hi:[1,0] neg_lo:[0,1] neg_hi:[0,1]
	v_pk_add_f32 v[8:9], v[8:9], v[26:27] op_sel:[0,1] op_sel_hi:[1,0]
	v_mov_b32_e32 v1, v25
	v_pk_add_f32 v[8:9], v[8:9], v[38:39] op_sel:[0,1] op_sel_hi:[1,0] neg_lo:[0,1] neg_hi:[0,1]
	v_pk_add_f32 v[38:39], v[44:45], v[38:39] op_sel:[0,1] op_sel_hi:[1,0]
	v_mov_b32_e32 v27, v9
	v_mov_b32_e32 v26, v38
	v_pk_fma_f32 v[26:27], v[2:3], s[2:3], v[26:27] op_sel_hi:[1,0,1]
	v_mov_b32_e32 v9, v39
	v_pk_mul_f32 v[44:45], v[26:27], s[4:5] op_sel_hi:[1,0]
	v_pk_fma_f32 v[2:3], v[2:3], s[2:3], v[8:9] op_sel_hi:[1,0,1]
	v_pk_fma_f32 v[46:47], v[26:27], s[2:3], v[44:45] op_sel:[0,0,1] op_sel_hi:[1,0,0]
	v_pk_fma_f32 v[26:27], v[26:27], s[2:3], v[44:45] op_sel:[0,0,1] op_sel_hi:[1,0,0] neg_lo:[0,0,1] neg_hi:[0,0,1]
	v_pk_fma_f32 v[0:1], v[4:5], s[2:3], v[0:1] op_sel_hi:[1,0,1]
	v_pk_mul_f32 v[4:5], v[2:3], s[2:3] op_sel_hi:[1,0]
	v_mov_b32_e32 v22, v14
	v_mov_b32_e32 v23, v13
	;; [unrolled: 1-line block ×3, first 2 shown]
	v_pk_fma_f32 v[2:3], v[2:3], s[14:15], v[4:5] op_sel:[0,0,1] op_sel_hi:[1,1,0] neg_lo:[0,0,1] neg_hi:[0,0,1]
	v_pk_fma_f32 v[22:23], v[6:7], s[2:3], v[22:23] op_sel_hi:[1,0,1]
	v_mov_b32_e32 v13, v15
	v_pk_add_f32 v[14:15], v[28:29], v[46:47]
	v_pk_add_f32 v[4:5], v[0:1], v[2:3] op_sel:[0,1] op_sel_hi:[1,0]
	v_pk_fma_f32 v[6:7], v[6:7], s[2:3], v[12:13] op_sel_hi:[1,0,1]
	ds_write2_b64 v60, v[14:15], v[4:5] offset0:20 offset1:30
	v_pk_add_f32 v[4:5], v[22:23], v[42:43]
	v_pk_add_f32 v[8:9], v[10:11], v[30:31] neg_lo:[0,1] neg_hi:[0,1]
	v_pk_add_f32 v[40:41], v[10:11], v[30:31]
	v_pk_add_f32 v[12:13], v[6:7], v[50:51]
	v_pk_add_f32 v[26:27], v[22:23], v[42:43] neg_lo:[0,1] neg_hi:[0,1]
	ds_write2_b64 v60, v[4:5], v[8:9] offset0:40 offset1:50
	v_pk_add_f32 v[4:5], v[6:7], v[50:51] neg_lo:[0,1] neg_hi:[0,1]
	v_pk_add_f32 v[6:7], v[28:29], v[46:47] neg_lo:[0,1] neg_hi:[0,1]
	v_pk_add_f32 v[0:1], v[0:1], v[2:3] op_sel:[0,1] op_sel_hi:[1,0] neg_lo:[0,1] neg_hi:[0,1]
	ds_write2_b64 v60, v[40:41], v[12:13] offset1:10
	ds_write2_b64 v60, v[4:5], v[6:7] offset0:60 offset1:70
	ds_write2_b64 v60, v[0:1], v[26:27] offset0:80 offset1:90
	s_waitcnt lgkmcnt(0)
	s_barrier
	ds_read_b64 v[22:23], v33
	ds_read2_b64 v[12:15], v32 offset0:44 offset1:134
	ds_read2_b64 v[4:7], v34 offset0:96 offset1:216
	;; [unrolled: 1-line block ×3, first 2 shown]
	v_add_u32_e32 v8, 0x1400, v21
	ds_read2_b64 v[8:11], v8 offset0:50 offset1:140
                                        ; implicit-def: $vgpr32
                                        ; implicit-def: $vgpr28
                                        ; implicit-def: $vgpr30
                                        ; implicit-def: $vgpr34
	s_and_saveexec_b64 s[2:3], vcc
	s_cbranch_execz .LBB0_21
; %bb.20:
	ds_read_b64 v[28:29], v21 offset:4560
	ds_read_b64 v[30:31], v21 offset:6960
	;; [unrolled: 1-line block ×3, first 2 shown]
	s_waitcnt lgkmcnt(2)
	v_mov_b32_e32 v32, v29
	s_waitcnt lgkmcnt(1)
	v_mov_b32_e32 v34, v31
.LBB0_21:
	s_or_b64 exec, exec, s[2:3]
	v_add_u32_e32 v39, 0x5a, v20
	v_add_u32_e32 v29, -10, v20
	v_cmp_gt_u32_e64 s[2:3], 10, v20
	v_lshlrev_b32_e32 v40, 1, v20
	v_mov_b32_e32 v41, 0
	v_cndmask_b32_e64 v29, v29, v39, s[2:3]
	v_lshl_add_u64 v[24:25], v[40:41], 3, s[8:9]
	v_lshlrev_b32_e32 v40, 1, v29
	v_lshl_add_u64 v[40:41], v[40:41], 3, s[8:9]
	global_load_dwordx4 v[42:45], v[40:41], off offset:720
	global_load_dwordx4 v[46:49], v[24:25], off offset:720
	v_add_u32_e32 v38, 0x10e, v20
	v_add_u32_e32 v40, 0xb4, v20
	v_mov_b32_e32 v31, 0x960
	v_lshrrev_b16_e32 v50, 2, v38
	v_cmp_lt_u32_e64 s[2:3], 9, v20
	v_lshrrev_b16_e32 v41, 2, v40
	v_mul_u32_u24_e32 v50, 0x147b, v50
	v_cndmask_b32_e64 v31, 0, v31, s[2:3]
	v_mul_u32_u24_e32 v41, 0x147b, v41
	v_add_u32_e32 v31, 0, v31
	v_lshlrev_b32_e32 v29, 3, v29
	v_lshrrev_b32_e32 v50, 17, v50
	s_movk_i32 s4, 0x960
	v_lshrrev_b32_e32 v41, 17, v41
	v_add3_u32 v62, v31, v29, v36
	v_mul_lo_u16_e32 v31, 0x64, v50
	v_mul_lo_u16_e32 v29, 0x64, v41
	v_mad_u32_u24 v58, v41, s4, 0
	v_sub_u16_e32 v41, v38, v31
	v_sub_u16_e32 v29, v40, v29
	v_lshlrev_b32_e32 v59, 4, v41
	v_lshlrev_b32_e32 v31, 4, v29
	;; [unrolled: 1-line block ×3, first 2 shown]
	v_add3_u32 v63, v58, v29, v36
	s_mov_b32 s2, 0x3f5db3d7
	s_waitcnt vmcnt(1) lgkmcnt(3)
	v_pk_mul_f32 v[50:51], v[42:43], v[14:15] op_sel:[0,1]
	s_waitcnt lgkmcnt(0)
	v_pk_mul_f32 v[52:53], v[44:45], v[8:9] op_sel:[0,1]
	v_pk_fma_f32 v[54:55], v[42:43], v[14:15], v[50:51] op_sel:[0,0,1] op_sel_hi:[1,1,0] neg_lo:[0,0,1] neg_hi:[0,0,1]
	v_pk_fma_f32 v[42:43], v[42:43], v[14:15], v[50:51] op_sel:[0,0,1] op_sel_hi:[1,0,0]
	v_pk_fma_f32 v[50:51], v[44:45], v[8:9], v[52:53] op_sel:[0,0,1] op_sel_hi:[1,1,0] neg_lo:[0,0,1] neg_hi:[0,0,1]
	v_pk_fma_f32 v[44:45], v[44:45], v[8:9], v[52:53] op_sel:[0,0,1] op_sel_hi:[1,0,0]
	s_waitcnt vmcnt(0)
	v_pk_mul_f32 v[8:9], v[46:47], v[12:13] op_sel:[0,1]
	v_mov_b32_e32 v55, v43
	v_pk_fma_f32 v[52:53], v[46:47], v[12:13], v[8:9] op_sel:[0,0,1] op_sel_hi:[1,1,0] neg_lo:[0,0,1] neg_hi:[0,0,1]
	v_pk_fma_f32 v[46:47], v[46:47], v[12:13], v[8:9] op_sel:[0,0,1] op_sel_hi:[1,0,0]
	v_pk_mul_f32 v[8:9], v[48:49], v[6:7] op_sel:[0,1]
	global_load_dwordx4 v[12:15], v31, s[8:9] offset:720
	v_pk_fma_f32 v[56:57], v[48:49], v[6:7], v[8:9] op_sel:[0,0,1] op_sel_hi:[1,1,0] neg_lo:[0,0,1] neg_hi:[0,0,1]
	v_pk_fma_f32 v[48:49], v[48:49], v[6:7], v[8:9] op_sel:[0,0,1] op_sel_hi:[1,0,0]
	global_load_dwordx4 v[6:9], v59, s[8:9] offset:720
	v_mov_b32_e32 v51, v45
	v_mov_b32_e32 v53, v47
	;; [unrolled: 1-line block ×3, first 2 shown]
	v_pk_add_f32 v[58:59], v[0:1], v[54:55]
	s_barrier
	s_waitcnt vmcnt(1)
	v_pk_mul_f32 v[46:47], v[12:13], v[4:5] op_sel:[0,1]
	v_pk_mul_f32 v[48:49], v[14:15], v[10:11] op_sel:[0,1]
	s_waitcnt vmcnt(0)
	v_pk_mul_f32 v[42:43], v[32:33], v[6:7] op_sel_hi:[0,1]
	v_pk_mul_f32 v[44:45], v[34:35], v[8:9] op_sel_hi:[0,1]
	v_pk_fma_f32 v[60:61], v[28:29], v[6:7], v[42:43] op_sel:[0,0,1] op_sel_hi:[1,1,0] neg_lo:[0,0,1] neg_hi:[0,0,1]
	v_pk_fma_f32 v[6:7], v[28:29], v[6:7], v[42:43] op_sel:[0,0,1] op_sel_hi:[0,1,0]
	v_pk_fma_f32 v[28:29], v[30:31], v[8:9], v[44:45] op_sel:[0,0,1] op_sel_hi:[1,1,0] neg_lo:[0,0,1] neg_hi:[0,0,1]
	v_pk_fma_f32 v[8:9], v[30:31], v[8:9], v[44:45] op_sel:[0,0,1] op_sel_hi:[0,1,0]
	v_pk_add_f32 v[30:31], v[22:23], v[52:53]
	v_pk_add_f32 v[42:43], v[52:53], v[56:57]
	v_pk_add_f32 v[44:45], v[52:53], v[56:57] neg_lo:[0,1] neg_hi:[0,1]
	v_pk_fma_f32 v[52:53], v[12:13], v[4:5], v[46:47] op_sel:[0,0,1] op_sel_hi:[1,1,0] neg_lo:[0,0,1] neg_hi:[0,0,1]
	v_pk_fma_f32 v[4:5], v[12:13], v[4:5], v[46:47] op_sel:[0,0,1] op_sel_hi:[1,0,0]
	v_pk_fma_f32 v[12:13], v[14:15], v[10:11], v[48:49] op_sel:[0,0,1] op_sel_hi:[1,1,0] neg_lo:[0,0,1] neg_hi:[0,0,1]
	v_pk_fma_f32 v[10:11], v[14:15], v[10:11], v[48:49] op_sel:[0,0,1] op_sel_hi:[1,0,0]
	v_mov_b32_e32 v61, v7
	v_mov_b32_e32 v29, v9
	;; [unrolled: 1-line block ×4, first 2 shown]
	v_pk_add_f32 v[6:7], v[26:27], v[60:61]
	v_pk_add_f32 v[8:9], v[60:61], v[28:29]
	v_pk_add_f32 v[10:11], v[60:61], v[28:29] neg_lo:[0,1] neg_hi:[0,1]
	v_pk_add_f32 v[46:47], v[30:31], v[56:57]
	v_pk_fma_f32 v[42:43], v[42:43], 0.5, v[22:23] op_sel_hi:[1,0,1] neg_lo:[1,0,0] neg_hi:[1,0,0]
	v_pk_mul_f32 v[44:45], v[44:45], s[2:3] op_sel_hi:[1,0]
	v_pk_add_f32 v[30:31], v[2:3], v[52:53]
	v_pk_add_f32 v[22:23], v[6:7], v[28:29]
	v_pk_fma_f32 v[6:7], v[8:9], 0.5, v[26:27] op_sel_hi:[1,0,1] neg_lo:[1,0,0] neg_hi:[1,0,0]
	v_pk_mul_f32 v[8:9], v[10:11], s[2:3] op_sel_hi:[1,0]
	v_pk_add_f32 v[4:5], v[42:43], v[44:45] op_sel:[0,1] op_sel_hi:[1,0]
	v_pk_add_f32 v[10:11], v[30:31], v[12:13]
	v_pk_add_f32 v[28:29], v[6:7], v[8:9] op_sel:[0,1] op_sel_hi:[1,0]
	v_pk_add_f32 v[30:31], v[6:7], v[8:9] op_sel:[0,1] op_sel_hi:[1,0] neg_lo:[0,1] neg_hi:[0,1]
	v_pk_add_f32 v[6:7], v[42:43], v[44:45] op_sel:[0,1] op_sel_hi:[1,0] neg_lo:[0,1] neg_hi:[0,1]
	v_mov_b32_e32 v8, v4
	v_mov_b32_e32 v9, v7
	;; [unrolled: 1-line block ×3, first 2 shown]
	v_pk_add_f32 v[4:5], v[54:55], v[50:51]
	ds_write_b64 v21, v[6:7] offset:1600
	v_pk_fma_f32 v[0:1], v[4:5], 0.5, v[0:1] op_sel_hi:[1,0,1] neg_lo:[1,0,0] neg_hi:[1,0,0]
	v_pk_add_f32 v[4:5], v[54:55], v[50:51] neg_lo:[0,1] neg_hi:[0,1]
	ds_write2_b64 v21, v[46:47], v[8:9] offset1:100
	v_pk_mul_f32 v[4:5], v[4:5], s[2:3] op_sel_hi:[1,0]
	v_pk_add_f32 v[14:15], v[58:59], v[50:51]
	v_pk_add_f32 v[6:7], v[0:1], v[4:5] op_sel:[0,1] op_sel_hi:[1,0]
	v_pk_add_f32 v[0:1], v[0:1], v[4:5] op_sel:[0,1] op_sel_hi:[1,0] neg_lo:[0,1] neg_hi:[0,1]
	v_mov_b32_e32 v4, v6
	v_mov_b32_e32 v5, v1
	;; [unrolled: 1-line block ×3, first 2 shown]
	ds_write_b64 v62, v[0:1] offset:1600
	v_pk_add_f32 v[0:1], v[52:53], v[12:13]
	ds_write2_b64 v62, v[14:15], v[4:5] offset1:100
	v_pk_fma_f32 v[0:1], v[0:1], 0.5, v[2:3] op_sel_hi:[1,0,1] neg_lo:[1,0,0] neg_hi:[1,0,0]
	v_pk_add_f32 v[2:3], v[52:53], v[12:13] neg_lo:[0,1] neg_hi:[0,1]
	v_mov_b32_e32 v26, v30
	v_pk_mul_f32 v[2:3], v[2:3], s[2:3] op_sel_hi:[1,0]
	v_mov_b32_e32 v27, v29
	v_pk_add_f32 v[4:5], v[0:1], v[2:3] op_sel:[0,1] op_sel_hi:[1,0]
	v_pk_add_f32 v[0:1], v[0:1], v[2:3] op_sel:[0,1] op_sel_hi:[1,0] neg_lo:[0,1] neg_hi:[0,1]
	v_mov_b32_e32 v2, v4
	v_mov_b32_e32 v3, v1
	;; [unrolled: 1-line block ×3, first 2 shown]
	ds_write2_b64 v63, v[10:11], v[2:3] offset1:100
	ds_write_b64 v63, v[0:1] offset:1600
	s_and_saveexec_b64 s[2:3], vcc
	s_cbranch_execz .LBB0_23
; %bb.22:
	v_lshlrev_b32_e32 v0, 3, v41
	v_add3_u32 v0, 0, v0, v36
	v_mov_b32_e32 v29, v31
	v_add_u32_e32 v1, 0x1000, v0
	ds_write2_b64 v1, v[22:23], v[28:29] offset0:88 offset1:188
	ds_write_b64 v0, v[26:27] offset:6400
.LBB0_23:
	s_or_b64 exec, exec, s[2:3]
	v_add_u32_e32 v0, 0x800, v21
	s_waitcnt lgkmcnt(0)
	s_barrier
	ds_read2_b64 v[12:15], v0 offset0:44 offset1:134
	v_add_u32_e32 v0, 0xc00, v21
	v_add_u32_e32 v8, 0x1400, v21
	ds_read_b64 v[32:33], v33
	ds_read2_b64 v[4:7], v0 offset0:96 offset1:216
	ds_read2_b64 v[0:3], v21 offset0:90 offset1:180
	;; [unrolled: 1-line block ×3, first 2 shown]
	v_mul_i32_i24_e32 v29, 0xffffffb8, v20
	s_and_saveexec_b64 s[2:3], vcc
	s_cbranch_execz .LBB0_25
; %bb.24:
	ds_read_b64 v[22:23], v21 offset:2160
	ds_read_b64 v[30:31], v21 offset:4560
	;; [unrolled: 1-line block ×3, first 2 shown]
	s_waitcnt lgkmcnt(1)
	v_mov_b32_e32 v28, v30
.LBB0_25:
	s_or_b64 exec, exec, s[2:3]
	global_load_dwordx4 v[42:45], v[24:25], off offset:2320
	v_lshlrev_b32_e32 v24, 1, v39
	v_mov_b32_e32 v25, 0
	v_lshl_add_u64 v[46:47], v[24:25], 3, s[8:9]
	v_lshlrev_b32_e32 v24, 1, v40
	global_load_dwordx4 v[46:49], v[46:47], off offset:2320
	v_lshl_add_u64 v[40:41], v[24:25], 3, s[8:9]
	global_load_dwordx4 v[50:53], v[40:41], off offset:2320
	v_add3_u32 v24, v37, v29, v36
	s_mov_b32 s2, 0x3f5db3d7
	s_waitcnt lgkmcnt(0)
	s_barrier
	s_waitcnt vmcnt(2)
	v_pk_mul_f32 v[36:37], v[42:43], v[12:13] op_sel:[0,1]
	v_pk_mul_f32 v[40:41], v[44:45], v[6:7] op_sel:[0,1]
	v_pk_fma_f32 v[54:55], v[42:43], v[12:13], v[36:37] op_sel:[0,0,1] op_sel_hi:[1,1,0] neg_lo:[0,0,1] neg_hi:[0,0,1]
	v_pk_fma_f32 v[12:13], v[42:43], v[12:13], v[36:37] op_sel:[0,0,1] op_sel_hi:[1,0,0]
	v_pk_fma_f32 v[36:37], v[44:45], v[6:7], v[40:41] op_sel:[0,0,1] op_sel_hi:[1,1,0] neg_lo:[0,0,1] neg_hi:[0,0,1]
	v_pk_fma_f32 v[6:7], v[44:45], v[6:7], v[40:41] op_sel:[0,0,1] op_sel_hi:[1,0,0]
	v_mov_b32_e32 v55, v13
	v_mov_b32_e32 v37, v7
	s_waitcnt vmcnt(1)
	v_pk_mul_f32 v[6:7], v[46:47], v[14:15] op_sel:[0,1]
	v_pk_mul_f32 v[12:13], v[48:49], v[8:9] op_sel:[0,1]
	v_pk_fma_f32 v[42:43], v[46:47], v[14:15], v[6:7] op_sel:[0,0,1] op_sel_hi:[1,1,0] neg_lo:[0,0,1] neg_hi:[0,0,1]
	v_pk_fma_f32 v[6:7], v[46:47], v[14:15], v[6:7] op_sel:[0,0,1] op_sel_hi:[1,0,0]
	v_pk_fma_f32 v[14:15], v[48:49], v[8:9], v[12:13] op_sel:[0,0,1] op_sel_hi:[1,1,0] neg_lo:[0,0,1] neg_hi:[0,0,1]
	v_pk_fma_f32 v[8:9], v[48:49], v[8:9], v[12:13] op_sel:[0,0,1] op_sel_hi:[1,0,0]
	s_waitcnt vmcnt(0)
	v_pk_mul_f32 v[12:13], v[50:51], v[4:5] op_sel:[0,1]
	v_pk_mul_f32 v[44:45], v[52:53], v[10:11] op_sel:[0,1]
	v_pk_add_f32 v[46:47], v[54:55], v[36:37]
	v_pk_add_f32 v[48:49], v[54:55], v[36:37] neg_lo:[0,1] neg_hi:[0,1]
	v_pk_add_f32 v[40:41], v[32:33], v[54:55]
	v_mov_b32_e32 v43, v7
	v_mov_b32_e32 v15, v9
	v_pk_fma_f32 v[6:7], v[50:51], v[4:5], v[12:13] op_sel:[0,0,1] op_sel_hi:[1,1,0] neg_lo:[0,0,1] neg_hi:[0,0,1]
	v_pk_fma_f32 v[4:5], v[50:51], v[4:5], v[12:13] op_sel:[0,0,1] op_sel_hi:[1,0,0]
	v_pk_fma_f32 v[8:9], v[52:53], v[10:11], v[44:45] op_sel:[0,0,1] op_sel_hi:[1,1,0] neg_lo:[0,0,1] neg_hi:[0,0,1]
	v_pk_fma_f32 v[10:11], v[52:53], v[10:11], v[44:45] op_sel:[0,0,1] op_sel_hi:[1,0,0]
	v_pk_fma_f32 v[12:13], v[46:47], 0.5, v[32:33] op_sel_hi:[1,0,1] neg_lo:[1,0,0] neg_hi:[1,0,0]
	v_pk_mul_f32 v[32:33], v[48:49], s[2:3] op_sel_hi:[1,0]
	v_pk_add_f32 v[36:37], v[40:41], v[36:37]
	v_pk_add_f32 v[40:41], v[0:1], v[42:43]
	v_mov_b32_e32 v7, v5
	v_mov_b32_e32 v9, v11
	v_pk_add_f32 v[4:5], v[12:13], v[32:33] op_sel:[0,1] op_sel_hi:[1,0]
	v_pk_add_f32 v[10:11], v[12:13], v[32:33] op_sel:[0,1] op_sel_hi:[1,0] neg_lo:[0,1] neg_hi:[0,1]
	v_pk_add_f32 v[12:13], v[42:43], v[14:15]
	v_pk_add_f32 v[32:33], v[42:43], v[14:15] neg_lo:[0,1] neg_hi:[0,1]
	v_pk_add_f32 v[14:15], v[40:41], v[14:15]
	v_pk_add_f32 v[40:41], v[2:3], v[6:7]
	v_mov_b32_e32 v42, v4
	v_mov_b32_e32 v43, v11
	;; [unrolled: 1-line block ×3, first 2 shown]
	v_pk_fma_f32 v[0:1], v[12:13], 0.5, v[0:1] op_sel_hi:[1,0,1] neg_lo:[1,0,0] neg_hi:[1,0,0]
	v_pk_mul_f32 v[4:5], v[32:33], s[2:3] op_sel_hi:[1,0]
	v_pk_add_f32 v[12:13], v[6:7], v[8:9]
	v_pk_add_f32 v[6:7], v[6:7], v[8:9] neg_lo:[0,1] neg_hi:[0,1]
	ds_write_b64 v21, v[42:43] offset:2400
	ds_write_b64 v21, v[10:11] offset:4800
	ds_write2_b64 v21, v[36:37], v[14:15] offset1:90
	v_pk_add_f32 v[10:11], v[0:1], v[4:5] op_sel:[0,1] op_sel_hi:[1,0]
	v_pk_add_f32 v[0:1], v[0:1], v[4:5] op_sel:[0,1] op_sel_hi:[1,0] neg_lo:[0,1] neg_hi:[0,1]
	v_pk_fma_f32 v[2:3], v[12:13], 0.5, v[2:3] op_sel_hi:[1,0,1] neg_lo:[1,0,0] neg_hi:[1,0,0]
	v_pk_mul_f32 v[4:5], v[6:7], s[2:3] op_sel_hi:[1,0]
	v_mov_b32_e32 v6, v10
	v_mov_b32_e32 v7, v1
	;; [unrolled: 1-line block ×3, first 2 shown]
	v_pk_add_f32 v[10:11], v[2:3], v[4:5] op_sel:[0,1] op_sel_hi:[1,0]
	v_pk_add_f32 v[2:3], v[2:3], v[4:5] op_sel:[0,1] op_sel_hi:[1,0] neg_lo:[0,1] neg_hi:[0,1]
	v_pk_add_f32 v[8:9], v[40:41], v[8:9]
	ds_write_b64 v24, v[6:7] offset:3120
	ds_write_b64 v24, v[0:1] offset:5520
	;; [unrolled: 1-line block ×3, first 2 shown]
	v_mov_b32_e32 v0, v10
	v_mov_b32_e32 v1, v3
	;; [unrolled: 1-line block ×3, first 2 shown]
	ds_write_b64 v24, v[0:1] offset:3840
	ds_write_b64 v24, v[2:3] offset:6240
	s_and_saveexec_b64 s[4:5], vcc
	s_cbranch_execz .LBB0_27
; %bb.26:
	v_subrev_u32_e32 v0, 30, v20
	v_cndmask_b32_e32 v0, v0, v38, vcc
	v_lshlrev_b32_e32 v24, 1, v0
	v_lshl_add_u64 v[0:1], v[24:25], 3, s[8:9]
	global_load_dwordx4 v[0:3], v[0:1], off offset:2320
	v_mov_b32_e32 v4, v31
	v_mov_b32_e32 v6, v27
	s_waitcnt vmcnt(0)
	v_pk_mul_f32 v[4:5], v[4:5], v[0:1] op_sel_hi:[0,1]
	v_pk_mul_f32 v[6:7], v[6:7], v[2:3] op_sel_hi:[0,1]
	v_pk_fma_f32 v[8:9], v[28:29], v[0:1], v[4:5] op_sel:[0,0,1] op_sel_hi:[1,1,0] neg_lo:[0,0,1] neg_hi:[0,0,1]
	v_pk_fma_f32 v[0:1], v[28:29], v[0:1], v[4:5] op_sel:[0,0,1] op_sel_hi:[0,1,0]
	v_pk_fma_f32 v[4:5], v[26:27], v[2:3], v[6:7] op_sel:[0,0,1] op_sel_hi:[1,1,0] neg_lo:[0,0,1] neg_hi:[0,0,1]
	v_pk_fma_f32 v[2:3], v[26:27], v[2:3], v[6:7] op_sel:[0,0,1] op_sel_hi:[0,1,0]
	v_mov_b32_e32 v9, v1
	v_mov_b32_e32 v5, v3
	v_pk_add_f32 v[0:1], v[22:23], v[8:9]
	v_pk_add_f32 v[2:3], v[8:9], v[4:5]
	v_pk_add_f32 v[6:7], v[8:9], v[4:5] neg_lo:[0,1] neg_hi:[0,1]
	v_pk_add_f32 v[0:1], v[0:1], v[4:5]
	v_pk_fma_f32 v[2:3], -0.5, v[2:3], v[22:23] op_sel_hi:[0,1,1]
	v_pk_mul_f32 v[4:5], v[6:7], s[2:3] op_sel_hi:[1,0]
	ds_write_b64 v21, v[0:1] offset:2160
	v_pk_add_f32 v[0:1], v[2:3], v[4:5] op_sel:[0,1] op_sel_hi:[1,0]
	v_pk_add_f32 v[2:3], v[2:3], v[4:5] op_sel:[0,1] op_sel_hi:[1,0] neg_lo:[0,1] neg_hi:[0,1]
	v_mov_b32_e32 v4, v0
	v_mov_b32_e32 v5, v3
	;; [unrolled: 1-line block ×3, first 2 shown]
	ds_write_b64 v21, v[4:5] offset:4560
	ds_write_b64 v21, v[2:3] offset:6960
.LBB0_27:
	s_or_b64 exec, exec, s[4:5]
	s_waitcnt lgkmcnt(0)
	s_barrier
	s_and_saveexec_b64 s[2:3], s[0:1]
	s_cbranch_execz .LBB0_29
; %bb.28:
	v_mul_lo_u32 v0, s11, v18
	v_mul_lo_u32 v1, s10, v19
	v_mad_u64_u32 v[4:5], s[0:1], s10, v18, 0
	v_lshl_add_u32 v10, v20, 3, v35
	v_add3_u32 v5, v5, v1, v0
	ds_read2_b64 v[0:3], v10 offset1:90
	v_lshl_add_u64 v[4:5], v[4:5], 3, s[6:7]
	v_mov_b32_e32 v21, 0
	v_lshl_add_u64 v[8:9], v[16:17], 3, v[4:5]
	v_lshl_add_u64 v[4:5], v[20:21], 3, v[8:9]
	s_waitcnt lgkmcnt(0)
	global_store_dwordx2 v[4:5], v[0:1], off
	v_add_u32_e32 v4, 0x400, v10
	ds_read2_b64 v[4:7], v4 offset0:52 offset1:142
	v_add_u32_e32 v0, 0x5a, v20
	v_mov_b32_e32 v1, v21
	v_lshl_add_u64 v[0:1], v[0:1], 3, v[8:9]
	global_store_dwordx2 v[0:1], v[2:3], off
	v_add_u32_e32 v0, 0xb4, v20
	v_mov_b32_e32 v1, v21
	v_lshl_add_u64 v[0:1], v[0:1], 3, v[8:9]
	s_waitcnt lgkmcnt(0)
	global_store_dwordx2 v[0:1], v[4:5], off
	v_add_u32_e32 v0, 0x10e, v20
	v_mov_b32_e32 v1, v21
	v_lshl_add_u64 v[4:5], v[0:1], 3, v[8:9]
	v_add_u32_e32 v0, 0x800, v10
	ds_read2_b64 v[0:3], v0 offset0:104 offset1:194
	global_store_dwordx2 v[4:5], v[6:7], off
	v_add_u32_e32 v4, 0x168, v20
	v_mov_b32_e32 v5, v21
	v_lshl_add_u64 v[4:5], v[4:5], 3, v[8:9]
	s_waitcnt lgkmcnt(0)
	global_store_dwordx2 v[4:5], v[0:1], off
	v_add_u32_e32 v4, 0x1000, v10
	ds_read2_b64 v[4:7], v4 offset0:28 offset1:118
	v_add_u32_e32 v0, 0x1c2, v20
	v_mov_b32_e32 v1, v21
	v_lshl_add_u64 v[0:1], v[0:1], 3, v[8:9]
	global_store_dwordx2 v[0:1], v[2:3], off
	v_add_u32_e32 v0, 0x21c, v20
	v_mov_b32_e32 v1, v21
	v_lshl_add_u64 v[0:1], v[0:1], 3, v[8:9]
	s_waitcnt lgkmcnt(0)
	global_store_dwordx2 v[0:1], v[4:5], off
	v_add_u32_e32 v0, 0x276, v20
	v_mov_b32_e32 v1, v21
	v_lshl_add_u64 v[4:5], v[0:1], 3, v[8:9]
	v_add_u32_e32 v0, 0x1400, v10
	ds_read2_b64 v[0:3], v0 offset0:80 offset1:170
	global_store_dwordx2 v[4:5], v[6:7], off
	v_add_u32_e32 v4, 0x2d0, v20
	v_mov_b32_e32 v5, v21
	v_lshl_add_u64 v[4:5], v[4:5], 3, v[8:9]
	v_add_u32_e32 v20, 0x32a, v20
	s_waitcnt lgkmcnt(0)
	global_store_dwordx2 v[4:5], v[0:1], off
	v_lshl_add_u64 v[0:1], v[20:21], 3, v[8:9]
	global_store_dwordx2 v[0:1], v[2:3], off
.LBB0_29:
	s_endpgm
	.section	.rodata,"a",@progbits
	.p2align	6, 0x0
	.amdhsa_kernel fft_rtc_fwd_len900_factors_10_10_3_3_wgs_180_tpt_90_halfLds_sp_op_CI_CI_unitstride_sbrr_C2R_dirReg
		.amdhsa_group_segment_fixed_size 0
		.amdhsa_private_segment_fixed_size 0
		.amdhsa_kernarg_size 104
		.amdhsa_user_sgpr_count 2
		.amdhsa_user_sgpr_dispatch_ptr 0
		.amdhsa_user_sgpr_queue_ptr 0
		.amdhsa_user_sgpr_kernarg_segment_ptr 1
		.amdhsa_user_sgpr_dispatch_id 0
		.amdhsa_user_sgpr_kernarg_preload_length 0
		.amdhsa_user_sgpr_kernarg_preload_offset 0
		.amdhsa_user_sgpr_private_segment_size 0
		.amdhsa_uses_dynamic_stack 0
		.amdhsa_enable_private_segment 0
		.amdhsa_system_sgpr_workgroup_id_x 1
		.amdhsa_system_sgpr_workgroup_id_y 0
		.amdhsa_system_sgpr_workgroup_id_z 0
		.amdhsa_system_sgpr_workgroup_info 0
		.amdhsa_system_vgpr_workitem_id 0
		.amdhsa_next_free_vgpr 64
		.amdhsa_next_free_sgpr 28
		.amdhsa_accum_offset 64
		.amdhsa_reserve_vcc 1
		.amdhsa_float_round_mode_32 0
		.amdhsa_float_round_mode_16_64 0
		.amdhsa_float_denorm_mode_32 3
		.amdhsa_float_denorm_mode_16_64 3
		.amdhsa_dx10_clamp 1
		.amdhsa_ieee_mode 1
		.amdhsa_fp16_overflow 0
		.amdhsa_tg_split 0
		.amdhsa_exception_fp_ieee_invalid_op 0
		.amdhsa_exception_fp_denorm_src 0
		.amdhsa_exception_fp_ieee_div_zero 0
		.amdhsa_exception_fp_ieee_overflow 0
		.amdhsa_exception_fp_ieee_underflow 0
		.amdhsa_exception_fp_ieee_inexact 0
		.amdhsa_exception_int_div_zero 0
	.end_amdhsa_kernel
	.text
.Lfunc_end0:
	.size	fft_rtc_fwd_len900_factors_10_10_3_3_wgs_180_tpt_90_halfLds_sp_op_CI_CI_unitstride_sbrr_C2R_dirReg, .Lfunc_end0-fft_rtc_fwd_len900_factors_10_10_3_3_wgs_180_tpt_90_halfLds_sp_op_CI_CI_unitstride_sbrr_C2R_dirReg
                                        ; -- End function
	.section	.AMDGPU.csdata,"",@progbits
; Kernel info:
; codeLenInByte = 7072
; NumSgprs: 34
; NumVgprs: 64
; NumAgprs: 0
; TotalNumVgprs: 64
; ScratchSize: 0
; MemoryBound: 0
; FloatMode: 240
; IeeeMode: 1
; LDSByteSize: 0 bytes/workgroup (compile time only)
; SGPRBlocks: 4
; VGPRBlocks: 7
; NumSGPRsForWavesPerEU: 34
; NumVGPRsForWavesPerEU: 64
; AccumOffset: 64
; Occupancy: 8
; WaveLimiterHint : 1
; COMPUTE_PGM_RSRC2:SCRATCH_EN: 0
; COMPUTE_PGM_RSRC2:USER_SGPR: 2
; COMPUTE_PGM_RSRC2:TRAP_HANDLER: 0
; COMPUTE_PGM_RSRC2:TGID_X_EN: 1
; COMPUTE_PGM_RSRC2:TGID_Y_EN: 0
; COMPUTE_PGM_RSRC2:TGID_Z_EN: 0
; COMPUTE_PGM_RSRC2:TIDIG_COMP_CNT: 0
; COMPUTE_PGM_RSRC3_GFX90A:ACCUM_OFFSET: 15
; COMPUTE_PGM_RSRC3_GFX90A:TG_SPLIT: 0
	.text
	.p2alignl 6, 3212836864
	.fill 256, 4, 3212836864
	.type	__hip_cuid_38ee77e9393b63c6,@object ; @__hip_cuid_38ee77e9393b63c6
	.section	.bss,"aw",@nobits
	.globl	__hip_cuid_38ee77e9393b63c6
__hip_cuid_38ee77e9393b63c6:
	.byte	0                               ; 0x0
	.size	__hip_cuid_38ee77e9393b63c6, 1

	.ident	"AMD clang version 19.0.0git (https://github.com/RadeonOpenCompute/llvm-project roc-6.4.0 25133 c7fe45cf4b819c5991fe208aaa96edf142730f1d)"
	.section	".note.GNU-stack","",@progbits
	.addrsig
	.addrsig_sym __hip_cuid_38ee77e9393b63c6
	.amdgpu_metadata
---
amdhsa.kernels:
  - .agpr_count:     0
    .args:
      - .actual_access:  read_only
        .address_space:  global
        .offset:         0
        .size:           8
        .value_kind:     global_buffer
      - .offset:         8
        .size:           8
        .value_kind:     by_value
      - .actual_access:  read_only
        .address_space:  global
        .offset:         16
        .size:           8
        .value_kind:     global_buffer
      - .actual_access:  read_only
        .address_space:  global
        .offset:         24
        .size:           8
        .value_kind:     global_buffer
      - .actual_access:  read_only
        .address_space:  global
        .offset:         32
        .size:           8
        .value_kind:     global_buffer
      - .offset:         40
        .size:           8
        .value_kind:     by_value
      - .actual_access:  read_only
        .address_space:  global
        .offset:         48
        .size:           8
        .value_kind:     global_buffer
      - .actual_access:  read_only
        .address_space:  global
        .offset:         56
        .size:           8
        .value_kind:     global_buffer
      - .offset:         64
        .size:           4
        .value_kind:     by_value
      - .actual_access:  read_only
        .address_space:  global
        .offset:         72
        .size:           8
        .value_kind:     global_buffer
      - .actual_access:  read_only
        .address_space:  global
        .offset:         80
        .size:           8
        .value_kind:     global_buffer
      - .actual_access:  read_only
        .address_space:  global
        .offset:         88
        .size:           8
        .value_kind:     global_buffer
      - .actual_access:  write_only
        .address_space:  global
        .offset:         96
        .size:           8
        .value_kind:     global_buffer
    .group_segment_fixed_size: 0
    .kernarg_segment_align: 8
    .kernarg_segment_size: 104
    .language:       OpenCL C
    .language_version:
      - 2
      - 0
    .max_flat_workgroup_size: 180
    .name:           fft_rtc_fwd_len900_factors_10_10_3_3_wgs_180_tpt_90_halfLds_sp_op_CI_CI_unitstride_sbrr_C2R_dirReg
    .private_segment_fixed_size: 0
    .sgpr_count:     34
    .sgpr_spill_count: 0
    .symbol:         fft_rtc_fwd_len900_factors_10_10_3_3_wgs_180_tpt_90_halfLds_sp_op_CI_CI_unitstride_sbrr_C2R_dirReg.kd
    .uniform_work_group_size: 1
    .uses_dynamic_stack: false
    .vgpr_count:     64
    .vgpr_spill_count: 0
    .wavefront_size: 64
amdhsa.target:   amdgcn-amd-amdhsa--gfx950
amdhsa.version:
  - 1
  - 2
...

	.end_amdgpu_metadata
